;; amdgpu-corpus repo=ROCm/rocFFT kind=compiled arch=gfx906 opt=O3
	.text
	.amdgcn_target "amdgcn-amd-amdhsa--gfx906"
	.amdhsa_code_object_version 6
	.protected	fft_rtc_fwd_len1280_factors_16_5_16_wgs_80_tpt_80_halfLds_half_op_CI_CI_unitstride_sbrr_R2C_dirReg ; -- Begin function fft_rtc_fwd_len1280_factors_16_5_16_wgs_80_tpt_80_halfLds_half_op_CI_CI_unitstride_sbrr_R2C_dirReg
	.globl	fft_rtc_fwd_len1280_factors_16_5_16_wgs_80_tpt_80_halfLds_half_op_CI_CI_unitstride_sbrr_R2C_dirReg
	.p2align	8
	.type	fft_rtc_fwd_len1280_factors_16_5_16_wgs_80_tpt_80_halfLds_half_op_CI_CI_unitstride_sbrr_R2C_dirReg,@function
fft_rtc_fwd_len1280_factors_16_5_16_wgs_80_tpt_80_halfLds_half_op_CI_CI_unitstride_sbrr_R2C_dirReg: ; @fft_rtc_fwd_len1280_factors_16_5_16_wgs_80_tpt_80_halfLds_half_op_CI_CI_unitstride_sbrr_R2C_dirReg
; %bb.0:
	s_load_dwordx4 s[8:11], s[4:5], 0x58
	s_load_dwordx4 s[12:15], s[4:5], 0x0
	;; [unrolled: 1-line block ×3, first 2 shown]
	v_mul_u32_u24_e32 v1, 0x334, v0
	v_mov_b32_e32 v3, 0
	v_mov_b32_e32 v11, 0
	s_waitcnt lgkmcnt(0)
	v_cmp_lt_u64_e64 s[0:1], s[14:15], 2
	v_add_u32_sdwa v7, s6, v1 dst_sel:DWORD dst_unused:UNUSED_PAD src0_sel:DWORD src1_sel:WORD_1
	v_mov_b32_e32 v8, v3
	s_and_b64 vcc, exec, s[0:1]
	v_mov_b32_e32 v12, 0
	s_cbranch_vccnz .LBB0_8
; %bb.1:
	s_load_dwordx2 s[0:1], s[4:5], 0x10
	s_add_u32 s2, s18, 8
	s_addc_u32 s3, s19, 0
	s_add_u32 s6, s16, 8
	s_addc_u32 s7, s17, 0
	v_mov_b32_e32 v11, 0
	s_waitcnt lgkmcnt(0)
	s_add_u32 s20, s0, 8
	v_mov_b32_e32 v12, 0
	v_mov_b32_e32 v1, v11
	s_addc_u32 s21, s1, 0
	s_mov_b64 s[22:23], 1
	v_mov_b32_e32 v2, v12
.LBB0_2:                                ; =>This Inner Loop Header: Depth=1
	s_load_dwordx2 s[24:25], s[20:21], 0x0
                                        ; implicit-def: $vgpr5_vgpr6
	s_waitcnt lgkmcnt(0)
	v_or_b32_e32 v4, s25, v8
	v_cmp_ne_u64_e32 vcc, 0, v[3:4]
	s_and_saveexec_b64 s[0:1], vcc
	s_xor_b64 s[26:27], exec, s[0:1]
	s_cbranch_execz .LBB0_4
; %bb.3:                                ;   in Loop: Header=BB0_2 Depth=1
	v_cvt_f32_u32_e32 v4, s24
	v_cvt_f32_u32_e32 v5, s25
	s_sub_u32 s0, 0, s24
	s_subb_u32 s1, 0, s25
	v_mac_f32_e32 v4, 0x4f800000, v5
	v_rcp_f32_e32 v4, v4
	v_mul_f32_e32 v4, 0x5f7ffffc, v4
	v_mul_f32_e32 v5, 0x2f800000, v4
	v_trunc_f32_e32 v5, v5
	v_mac_f32_e32 v4, 0xcf800000, v5
	v_cvt_u32_f32_e32 v5, v5
	v_cvt_u32_f32_e32 v4, v4
	v_mul_lo_u32 v6, s0, v5
	v_mul_hi_u32 v9, s0, v4
	v_mul_lo_u32 v13, s1, v4
	v_mul_lo_u32 v10, s0, v4
	v_add_u32_e32 v6, v9, v6
	v_add_u32_e32 v6, v6, v13
	v_mul_hi_u32 v9, v4, v10
	v_mul_lo_u32 v13, v4, v6
	v_mul_hi_u32 v15, v4, v6
	v_mul_hi_u32 v14, v5, v10
	v_mul_lo_u32 v10, v5, v10
	v_mul_hi_u32 v16, v5, v6
	v_add_co_u32_e32 v9, vcc, v9, v13
	v_addc_co_u32_e32 v13, vcc, 0, v15, vcc
	v_mul_lo_u32 v6, v5, v6
	v_add_co_u32_e32 v9, vcc, v9, v10
	v_addc_co_u32_e32 v9, vcc, v13, v14, vcc
	v_addc_co_u32_e32 v10, vcc, 0, v16, vcc
	v_add_co_u32_e32 v6, vcc, v9, v6
	v_addc_co_u32_e32 v9, vcc, 0, v10, vcc
	v_add_co_u32_e32 v4, vcc, v4, v6
	v_addc_co_u32_e32 v5, vcc, v5, v9, vcc
	v_mul_lo_u32 v6, s0, v5
	v_mul_hi_u32 v9, s0, v4
	v_mul_lo_u32 v10, s1, v4
	v_mul_lo_u32 v13, s0, v4
	v_add_u32_e32 v6, v9, v6
	v_add_u32_e32 v6, v6, v10
	v_mul_lo_u32 v14, v4, v6
	v_mul_hi_u32 v15, v4, v13
	v_mul_hi_u32 v16, v4, v6
	v_mul_hi_u32 v10, v5, v13
	v_mul_lo_u32 v13, v5, v13
	v_mul_hi_u32 v9, v5, v6
	v_add_co_u32_e32 v14, vcc, v15, v14
	v_addc_co_u32_e32 v15, vcc, 0, v16, vcc
	v_mul_lo_u32 v6, v5, v6
	v_add_co_u32_e32 v13, vcc, v14, v13
	v_addc_co_u32_e32 v10, vcc, v15, v10, vcc
	v_addc_co_u32_e32 v9, vcc, 0, v9, vcc
	v_add_co_u32_e32 v6, vcc, v10, v6
	v_addc_co_u32_e32 v9, vcc, 0, v9, vcc
	v_add_co_u32_e32 v6, vcc, v4, v6
	v_addc_co_u32_e32 v9, vcc, v5, v9, vcc
	v_mad_u64_u32 v[4:5], s[0:1], v7, v9, 0
	v_mul_hi_u32 v10, v7, v6
	v_add_co_u32_e32 v13, vcc, v10, v4
	v_addc_co_u32_e32 v14, vcc, 0, v5, vcc
	v_mad_u64_u32 v[4:5], s[0:1], v8, v6, 0
	v_mad_u64_u32 v[9:10], s[0:1], v8, v9, 0
	v_add_co_u32_e32 v4, vcc, v13, v4
	v_addc_co_u32_e32 v4, vcc, v14, v5, vcc
	v_addc_co_u32_e32 v5, vcc, 0, v10, vcc
	v_add_co_u32_e32 v9, vcc, v4, v9
	v_addc_co_u32_e32 v6, vcc, 0, v5, vcc
	v_mul_lo_u32 v10, s25, v9
	v_mul_lo_u32 v13, s24, v6
	v_mad_u64_u32 v[4:5], s[0:1], s24, v9, 0
	v_add3_u32 v5, v5, v13, v10
	v_sub_u32_e32 v10, v8, v5
	v_mov_b32_e32 v13, s25
	v_sub_co_u32_e32 v4, vcc, v7, v4
	v_subb_co_u32_e64 v10, s[0:1], v10, v13, vcc
	v_subrev_co_u32_e64 v13, s[0:1], s24, v4
	v_subbrev_co_u32_e64 v10, s[0:1], 0, v10, s[0:1]
	v_cmp_le_u32_e64 s[0:1], s25, v10
	v_cndmask_b32_e64 v14, 0, -1, s[0:1]
	v_cmp_le_u32_e64 s[0:1], s24, v13
	v_cndmask_b32_e64 v13, 0, -1, s[0:1]
	v_cmp_eq_u32_e64 s[0:1], s25, v10
	v_cndmask_b32_e64 v10, v14, v13, s[0:1]
	v_add_co_u32_e64 v13, s[0:1], 2, v9
	v_addc_co_u32_e64 v14, s[0:1], 0, v6, s[0:1]
	v_add_co_u32_e64 v15, s[0:1], 1, v9
	v_addc_co_u32_e64 v16, s[0:1], 0, v6, s[0:1]
	v_subb_co_u32_e32 v5, vcc, v8, v5, vcc
	v_cmp_ne_u32_e64 s[0:1], 0, v10
	v_cmp_le_u32_e32 vcc, s25, v5
	v_cndmask_b32_e64 v10, v16, v14, s[0:1]
	v_cndmask_b32_e64 v14, 0, -1, vcc
	v_cmp_le_u32_e32 vcc, s24, v4
	v_cndmask_b32_e64 v4, 0, -1, vcc
	v_cmp_eq_u32_e32 vcc, s25, v5
	v_cndmask_b32_e32 v4, v14, v4, vcc
	v_cmp_ne_u32_e32 vcc, 0, v4
	v_cndmask_b32_e64 v4, v15, v13, s[0:1]
	v_cndmask_b32_e32 v6, v6, v10, vcc
	v_cndmask_b32_e32 v5, v9, v4, vcc
.LBB0_4:                                ;   in Loop: Header=BB0_2 Depth=1
	s_andn2_saveexec_b64 s[0:1], s[26:27]
	s_cbranch_execz .LBB0_6
; %bb.5:                                ;   in Loop: Header=BB0_2 Depth=1
	v_cvt_f32_u32_e32 v4, s24
	s_sub_i32 s26, 0, s24
	v_rcp_iflag_f32_e32 v4, v4
	v_mul_f32_e32 v4, 0x4f7ffffe, v4
	v_cvt_u32_f32_e32 v4, v4
	v_mul_lo_u32 v5, s26, v4
	v_mul_hi_u32 v5, v4, v5
	v_add_u32_e32 v4, v4, v5
	v_mul_hi_u32 v4, v7, v4
	v_mul_lo_u32 v5, v4, s24
	v_add_u32_e32 v6, 1, v4
	v_sub_u32_e32 v5, v7, v5
	v_subrev_u32_e32 v9, s24, v5
	v_cmp_le_u32_e32 vcc, s24, v5
	v_cndmask_b32_e32 v5, v5, v9, vcc
	v_cndmask_b32_e32 v4, v4, v6, vcc
	v_add_u32_e32 v6, 1, v4
	v_cmp_le_u32_e32 vcc, s24, v5
	v_cndmask_b32_e32 v5, v4, v6, vcc
	v_mov_b32_e32 v6, v3
.LBB0_6:                                ;   in Loop: Header=BB0_2 Depth=1
	s_or_b64 exec, exec, s[0:1]
	v_mul_lo_u32 v4, v6, s24
	v_mul_lo_u32 v13, v5, s25
	v_mad_u64_u32 v[9:10], s[0:1], v5, s24, 0
	s_load_dwordx2 s[0:1], s[6:7], 0x0
	s_load_dwordx2 s[24:25], s[2:3], 0x0
	v_add3_u32 v4, v10, v13, v4
	v_sub_co_u32_e32 v7, vcc, v7, v9
	v_subb_co_u32_e32 v4, vcc, v8, v4, vcc
	s_waitcnt lgkmcnt(0)
	v_mul_lo_u32 v8, s0, v4
	v_mul_lo_u32 v9, s1, v7
	v_mad_u64_u32 v[11:12], s[0:1], s0, v7, v[11:12]
	s_add_u32 s22, s22, 1
	s_addc_u32 s23, s23, 0
	s_add_u32 s2, s2, 8
	v_mul_lo_u32 v4, s24, v4
	v_mul_lo_u32 v10, s25, v7
	v_mad_u64_u32 v[1:2], s[0:1], s24, v7, v[1:2]
	v_add3_u32 v12, v9, v12, v8
	s_addc_u32 s3, s3, 0
	v_mov_b32_e32 v7, s14
	s_add_u32 s6, s6, 8
	v_mov_b32_e32 v8, s15
	s_addc_u32 s7, s7, 0
	v_cmp_ge_u64_e32 vcc, s[22:23], v[7:8]
	s_add_u32 s20, s20, 8
	v_add3_u32 v2, v10, v2, v4
	s_addc_u32 s21, s21, 0
	s_cbranch_vccnz .LBB0_9
; %bb.7:                                ;   in Loop: Header=BB0_2 Depth=1
	v_mov_b32_e32 v8, v6
	v_mov_b32_e32 v7, v5
	s_branch .LBB0_2
.LBB0_8:
	v_mov_b32_e32 v1, v11
	v_mov_b32_e32 v5, v7
	;; [unrolled: 1-line block ×4, first 2 shown]
.LBB0_9:
	s_load_dwordx2 s[4:5], s[4:5], 0x28
	s_lshl_b64 s[6:7], s[14:15], 3
	s_add_u32 s2, s18, s6
	s_addc_u32 s3, s19, s7
                                        ; implicit-def: $vgpr3
                                        ; implicit-def: $vgpr7
                                        ; implicit-def: $vgpr10
                                        ; implicit-def: $vgpr9
	s_waitcnt lgkmcnt(0)
	v_cmp_gt_u64_e64 s[0:1], s[4:5], v[5:6]
	v_cmp_le_u64_e32 vcc, s[4:5], v[5:6]
	s_and_saveexec_b64 s[4:5], vcc
	s_xor_b64 s[4:5], exec, s[4:5]
; %bb.10:
	s_mov_b32 s14, 0x3333334
	v_mul_hi_u32 v3, v0, s14
                                        ; implicit-def: $vgpr11_vgpr12
	v_mul_u32_u24_e32 v3, 0x50, v3
	v_sub_u32_e32 v3, v0, v3
	v_add_u32_e32 v7, 0x50, v3
	v_add_u32_e32 v10, 0xa0, v3
	;; [unrolled: 1-line block ×3, first 2 shown]
                                        ; implicit-def: $vgpr0
; %bb.11:
	s_andn2_saveexec_b64 s[4:5], s[4:5]
	s_cbranch_execz .LBB0_13
; %bb.12:
	s_add_u32 s6, s16, s6
	s_addc_u32 s7, s17, s7
	s_load_dwordx2 s[6:7], s[6:7], 0x0
	s_mov_b32 s14, 0x3333334
	v_mul_hi_u32 v3, v0, s14
	s_waitcnt lgkmcnt(0)
	v_mul_lo_u32 v4, s7, v5
	v_mul_lo_u32 v9, s6, v6
	v_mad_u64_u32 v[7:8], s[6:7], s6, v5, 0
	v_mul_u32_u24_e32 v3, 0x50, v3
	v_sub_u32_e32 v3, v0, v3
	v_add3_u32 v8, v8, v9, v4
	v_lshlrev_b64 v[7:8], 2, v[7:8]
	v_mov_b32_e32 v0, s9
	v_add_co_u32_e32 v4, vcc, s8, v7
	v_addc_co_u32_e32 v0, vcc, v0, v8, vcc
	v_lshlrev_b64 v[7:8], 2, v[11:12]
	v_lshlrev_b32_e32 v11, 2, v3
	v_add_co_u32_e32 v4, vcc, v4, v7
	v_addc_co_u32_e32 v0, vcc, v0, v8, vcc
	v_add_co_u32_e32 v7, vcc, v4, v11
	v_addc_co_u32_e32 v8, vcc, 0, v0, vcc
	v_add_co_u32_e32 v9, vcc, 0x1000, v7
	global_load_dword v0, v[7:8], off
	global_load_dword v4, v[7:8], off offset:320
	global_load_dword v12, v[7:8], off offset:640
	global_load_dword v13, v[7:8], off offset:960
	global_load_dword v14, v[7:8], off offset:1280
	global_load_dword v15, v[7:8], off offset:1600
	global_load_dword v16, v[7:8], off offset:1920
	global_load_dword v17, v[7:8], off offset:2240
	v_addc_co_u32_e32 v10, vcc, 0, v8, vcc
	global_load_dword v18, v[7:8], off offset:2560
	global_load_dword v19, v[7:8], off offset:2880
	;; [unrolled: 1-line block ×8, first 2 shown]
	v_add_u32_e32 v7, 0x50, v3
	v_add_u32_e32 v10, 0xa0, v3
	;; [unrolled: 1-line block ×10, first 2 shown]
	s_waitcnt vmcnt(14)
	ds_write2_b32 v8, v0, v4 offset1:80
	s_waitcnt vmcnt(12)
	ds_write2_b32 v8, v12, v13 offset0:160 offset1:240
	s_waitcnt vmcnt(10)
	ds_write2_b32 v11, v14, v15 offset0:64 offset1:144
	;; [unrolled: 2-line block ×7, first 2 shown]
.LBB0_13:
	s_or_b64 exec, exec, s[4:5]
	v_lshl_add_u32 v0, v3, 2, 0
	v_add_u32_e32 v25, 0x800, v0
	s_load_dwordx2 s[2:3], s[2:3], 0x0
	s_waitcnt lgkmcnt(0)
	s_barrier
	ds_read2_b32 v[11:12], v0 offset1:80
	ds_read2_b32 v[13:14], v0 offset0:160 offset1:240
	ds_read2_b32 v[19:20], v25 offset0:128 offset1:208
	v_add_u32_e32 v4, 0x600, v0
	ds_read2_b32 v[17:18], v4 offset0:96 offset1:176
	v_add_u32_e32 v4, 0xe00, v0
	v_add_u32_e32 v27, 0x400, v0
	;; [unrolled: 1-line block ×3, first 2 shown]
	ds_read2_b32 v[23:24], v4 offset0:64 offset1:144
	v_add_u32_e32 v29, 0x1000, v0
	s_waitcnt lgkmcnt(2)
	v_pk_add_f16 v4, v11, v19 neg_lo:[0,1] neg_hi:[0,1]
	v_pk_add_f16 v8, v12, v20 neg_lo:[0,1] neg_hi:[0,1]
	ds_read2_b32 v[15:16], v27 offset0:64 offset1:144
	ds_read2_b32 v[21:22], v28 offset0:32 offset1:112
	v_pk_fma_f16 v19, v11, 2.0, v4 op_sel_hi:[1,0,1] neg_lo:[0,0,1] neg_hi:[0,0,1]
	v_pk_fma_f16 v20, v12, 2.0, v8 op_sel_hi:[1,0,1] neg_lo:[0,0,1] neg_hi:[0,0,1]
	ds_read2_b32 v[11:12], v29 offset0:96 offset1:176
	s_waitcnt lgkmcnt(2)
	v_pk_add_f16 v23, v15, v23 neg_lo:[0,1] neg_hi:[0,1]
	s_waitcnt lgkmcnt(1)
	v_pk_add_f16 v21, v13, v21 neg_lo:[0,1] neg_hi:[0,1]
	v_sub_f16_sdwa v26, v4, v23 dst_sel:DWORD dst_unused:UNUSED_PAD src0_sel:DWORD src1_sel:WORD_1
	v_lshrrev_b32_e32 v30, 16, v4
	s_waitcnt lgkmcnt(0)
	v_pk_add_f16 v11, v17, v11 neg_lo:[0,1] neg_hi:[0,1]
	v_sub_f16_sdwa v31, v21, v11 dst_sel:DWORD dst_unused:UNUSED_PAD src0_sel:DWORD src1_sel:WORD_1
	v_lshrrev_b32_e32 v32, 16, v21
	v_pk_fma_f16 v15, v15, 2.0, v23 op_sel_hi:[1,0,1] neg_lo:[0,0,1] neg_hi:[0,0,1]
	v_pk_fma_f16 v17, v17, 2.0, v11 op_sel_hi:[1,0,1] neg_lo:[0,0,1] neg_hi:[0,0,1]
	v_add_f16_e32 v23, v30, v23
	v_fma_f16 v4, v4, 2.0, -v26
	v_add_f16_e32 v33, v32, v11
	v_fma_f16 v11, v21, 2.0, -v31
	s_mov_b32 s4, 0xb9a8
	v_pk_fma_f16 v13, v13, 2.0, v21 op_sel_hi:[1,0,1] neg_lo:[0,0,1] neg_hi:[0,0,1]
	v_fma_f16 v30, v30, 2.0, -v23
	v_fma_f16 v21, v32, 2.0, -v33
	v_fma_f16 v32, v11, s4, v4
	v_pk_add_f16 v24, v16, v24 neg_lo:[0,1] neg_hi:[0,1]
	v_pk_add_f16 v22, v14, v22 neg_lo:[0,1] neg_hi:[0,1]
	;; [unrolled: 1-line block ×3, first 2 shown]
	v_fma_f16 v32, v21, s4, v32
	v_fma_f16 v21, v21, s4, v30
	s_movk_i32 s5, 0x39a8
	v_fma_f16 v21, v11, s5, v21
	v_sub_f16_sdwa v34, v8, v24 dst_sel:DWORD dst_unused:UNUSED_PAD src0_sel:DWORD src1_sel:WORD_1
	v_lshrrev_b32_e32 v11, 16, v8
	v_sub_f16_sdwa v35, v22, v12 dst_sel:DWORD dst_unused:UNUSED_PAD src0_sel:DWORD src1_sel:WORD_1
	v_lshrrev_b32_e32 v36, 16, v22
	v_pk_fma_f16 v16, v16, 2.0, v24 op_sel_hi:[1,0,1] neg_lo:[0,0,1] neg_hi:[0,0,1]
	v_pk_fma_f16 v14, v14, 2.0, v22 op_sel_hi:[1,0,1] neg_lo:[0,0,1] neg_hi:[0,0,1]
	;; [unrolled: 1-line block ×3, first 2 shown]
	v_add_f16_e32 v24, v11, v24
	v_fma_f16 v8, v8, 2.0, -v34
	v_add_f16_e32 v12, v36, v12
	v_fma_f16 v22, v22, 2.0, -v35
	v_fma_f16 v11, v11, 2.0, -v24
	;; [unrolled: 1-line block ×3, first 2 shown]
	v_fma_f16 v37, v22, s4, v8
	v_fma_f16 v37, v36, s4, v37
	;; [unrolled: 1-line block ×4, first 2 shown]
	v_fma_f16 v4, v4, 2.0, -v32
	v_fma_f16 v8, v8, 2.0, -v37
	s_mov_b32 s6, 0xbb64
	v_fma_f16 v30, v30, 2.0, -v21
	v_fma_f16 v11, v11, 2.0, -v22
	s_mov_b32 s7, 0xb61f
	v_fma_f16 v36, v8, s6, v4
	v_fma_f16 v36, v11, s7, v36
	v_fma_f16 v11, v11, s6, v30
	s_movk_i32 s8, 0x361f
	v_fma_f16 v38, v8, s8, v11
	v_fma_f16 v4, v4, 2.0, -v36
	v_fma_f16 v8, v30, 2.0, -v38
	v_pack_b32_f16 v4, v4, v8
	v_pk_add_f16 v8, v19, v15 neg_lo:[0,1] neg_hi:[0,1]
	v_pk_add_f16 v15, v13, v17 neg_lo:[0,1] neg_hi:[0,1]
	;; [unrolled: 1-line block ×4, first 2 shown]
	v_pk_fma_f16 v11, v19, 2.0, v8 op_sel_hi:[1,0,1] neg_lo:[0,0,1] neg_hi:[0,0,1]
	v_pk_fma_f16 v13, v13, 2.0, v15 op_sel_hi:[1,0,1] neg_lo:[0,0,1] neg_hi:[0,0,1]
	;; [unrolled: 1-line block ×4, first 2 shown]
	v_pk_add_f16 v13, v11, v13 neg_lo:[0,1] neg_hi:[0,1]
	v_pk_add_f16 v14, v17, v14 neg_lo:[0,1] neg_hi:[0,1]
	v_pk_fma_f16 v11, v11, 2.0, v13 op_sel_hi:[1,0,1] neg_lo:[0,0,1] neg_hi:[0,0,1]
	v_pk_fma_f16 v17, v17, 2.0, v14 op_sel_hi:[1,0,1] neg_lo:[0,0,1] neg_hi:[0,0,1]
	v_pk_add_f16 v17, v11, v17 neg_lo:[0,1] neg_hi:[0,1]
	v_pk_fma_f16 v19, v11, 2.0, v17 op_sel_hi:[1,0,1] neg_lo:[0,0,1] neg_hi:[0,0,1]
	v_mad_u32_u24 v11, v3, 60, v0
	s_barrier
	ds_write2_b32 v11, v19, v4 offset1:1
	v_fma_f16 v4, v31, s5, v26
	v_fma_f16 v19, v33, s4, v4
	;; [unrolled: 1-line block ×8, first 2 shown]
	v_sub_f16_sdwa v31, v8, v15 dst_sel:DWORD dst_unused:UNUSED_PAD src0_sel:DWORD src1_sel:WORD_1
	v_lshrrev_b32_e32 v4, 16, v8
	v_sub_f16_sdwa v33, v16, v18 dst_sel:DWORD dst_unused:UNUSED_PAD src0_sel:DWORD src1_sel:WORD_1
	v_lshrrev_b32_e32 v35, 16, v16
	v_add_f16_e32 v15, v4, v15
	v_fma_f16 v8, v8, 2.0, -v31
	v_add_f16_e32 v18, v35, v18
	v_fma_f16 v16, v16, 2.0, -v33
	v_fma_f16 v4, v4, 2.0, -v15
	;; [unrolled: 1-line block ×3, first 2 shown]
	v_fma_f16 v39, v16, s4, v8
	v_fma_f16 v39, v35, s4, v39
	v_fma_f16 v35, v35, s4, v4
	v_fma_f16 v26, v26, 2.0, -v19
	v_fma_f16 v34, v34, 2.0, -v30
	v_fma_f16 v16, v16, s5, v35
	v_fma_f16 v23, v23, 2.0, -v20
	v_fma_f16 v24, v24, 2.0, -v12
	v_fma_f16 v35, v34, s7, v26
	v_fma_f16 v35, v24, s6, v35
	;; [unrolled: 1-line block ×3, first 2 shown]
	s_movk_i32 s9, 0x3b64
	v_fma_f16 v24, v34, s9, v24
	v_fma_f16 v26, v26, 2.0, -v35
	v_fma_f16 v23, v23, 2.0, -v24
	;; [unrolled: 1-line block ×4, first 2 shown]
	v_pack_b32_f16 v23, v26, v23
	v_pack_b32_f16 v4, v8, v4
	ds_write2_b32 v11, v4, v23 offset0:2 offset1:3
	v_fma_f16 v4, v37, s8, v32
	v_fma_f16 v23, v22, s6, v4
	;; [unrolled: 1-line block ×4, first 2 shown]
	v_lshrrev_b32_e32 v4, 16, v13
	v_sub_f16_sdwa v26, v13, v14 dst_sel:DWORD dst_unused:UNUSED_PAD src0_sel:DWORD src1_sel:WORD_1
	v_add_f16_e32 v14, v4, v14
	v_fma_f16 v8, v13, 2.0, -v26
	v_fma_f16 v4, v4, 2.0, -v14
	v_pack_b32_f16 v4, v8, v4
	v_fma_f16 v8, v32, 2.0, -v23
	v_fma_f16 v13, v21, 2.0, -v22
	v_pack_b32_f16 v8, v8, v13
	ds_write2_b32 v11, v4, v8 offset0:4 offset1:5
	v_fma_f16 v4, v33, s5, v31
	v_fma_f16 v13, v18, s4, v4
	;; [unrolled: 1-line block ×8, first 2 shown]
	v_fma_f16 v12, v19, 2.0, -v4
	v_fma_f16 v19, v20, 2.0, -v8
	v_pack_b32_f16 v12, v12, v19
	v_fma_f16 v19, v31, 2.0, -v13
	v_fma_f16 v15, v15, 2.0, -v18
	v_pack_b32_f16 v15, v19, v15
	ds_write2_b32 v11, v15, v12 offset0:6 offset1:7
	v_pack_b32_f16 v12, v36, v38
	ds_write2_b32 v11, v17, v12 offset0:8 offset1:9
	v_pack_b32_f16 v12, v35, v24
	v_pack_b32_f16 v15, v39, v16
	ds_write2_b32 v11, v15, v12 offset0:10 offset1:11
	v_pack_b32_f16 v12, v26, v14
	;; [unrolled: 3-line block ×3, first 2 shown]
	v_pack_b32_f16 v13, v13, v18
	ds_write2_b32 v11, v13, v12 offset0:14 offset1:15
	v_add_u32_e32 v12, 0xa00, v0
	s_waitcnt lgkmcnt(0)
	s_barrier
	ds_read2_b32 v[25:26], v25 offset1:80
	ds_read2_b32 v[23:24], v12 offset0:32 offset1:128
	ds_read2_b32 v[19:20], v29 offset1:80
	ds_read2_b32 v[15:16], v27 offset0:80 offset1:160
	ds_read2_b32 v[21:22], v28 offset0:80 offset1:160
	v_lshl_add_u32 v28, v10, 2, 0
	v_lshl_add_u32 v29, v7, 2, 0
	ds_read_b32 v40, v28
	ds_read_b32 v43, v29
	ds_read_b32 v44, v0 offset:4736
	ds_read2st64_b32 v[17:18], v0 offset1:4
	v_cmp_gt_u32_e32 vcc, 16, v3
	v_lshl_add_u32 v27, v9, 2, 0
                                        ; implicit-def: $vgpr30
                                        ; implicit-def: $vgpr33
                                        ; implicit-def: $vgpr32
                                        ; implicit-def: $vgpr31
                                        ; implicit-def: $vgpr12
                                        ; implicit-def: $vgpr14
	s_and_saveexec_b64 s[4:5], vcc
	s_cbranch_execz .LBB0_15
; %bb.14:
	s_movk_i32 s6, 0xffc4
	v_mad_i32_i24 v8, v3, s6, v11
	v_add_u32_e32 v8, 0xc0, v8
	ds_read_b32 v4, v27
	ds_read2st64_b32 v[13:14], v8 offset0:7 offset1:11
	ds_read2st64_b32 v[11:12], v8 offset0:15 offset1:19
	s_waitcnt lgkmcnt(2)
	v_lshrrev_b32_e32 v8, 16, v4
	s_waitcnt lgkmcnt(1)
	v_lshrrev_b32_e32 v31, 16, v13
	v_lshrrev_b32_e32 v32, 16, v14
	s_waitcnt lgkmcnt(0)
	v_lshrrev_b32_e32 v33, 16, v11
	v_lshrrev_b32_e32 v30, 16, v12
.LBB0_15:
	s_or_b64 exec, exec, s[4:5]
	v_lshlrev_b32_e32 v34, 4, v3
	v_and_b32_e32 v42, 0xf0, v34
	v_and_b32_e32 v45, 15, v3
	global_load_dword v38, v42, s[12:13] offset:2
	global_load_dword v35, v42, s[12:13] offset:4
	;; [unrolled: 1-line block ×6, first 2 shown]
	global_load_dword v37, v42, s[12:13]
	v_lshlrev_b32_e32 v46, 4, v45
	global_load_ushort v46, v46, s[12:13]
	s_waitcnt lgkmcnt(8)
	v_lshrrev_b32_e32 v49, 16, v25
	s_waitcnt lgkmcnt(7)
	v_lshrrev_b32_e32 v52, 16, v23
	;; [unrolled: 2-line block ×3, first 2 shown]
	v_lshrrev_b32_e32 v51, 16, v26
	v_lshrrev_b32_e32 v50, 16, v24
	;; [unrolled: 1-line block ×5, first 2 shown]
	s_waitcnt lgkmcnt(0)
	v_lshrrev_b32_e32 v58, 16, v18
	v_lshrrev_b32_e32 v56, 16, v15
	;; [unrolled: 1-line block ×5, first 2 shown]
	s_movk_i32 s7, 0x3b9c
	s_mov_b32 s14, 0xbb9c
	s_movk_i32 s6, 0x38b4
	s_mov_b32 s9, 0xb8b4
	s_movk_i32 s8, 0x34f2
	s_movk_i32 s4, 0x50
	s_waitcnt vmcnt(0)
	s_barrier
	v_lshrrev_b32_e32 v60, 16, v38
	v_mul_f16_sdwa v61, v35, v49 dst_sel:DWORD dst_unused:UNUSED_PAD src0_sel:WORD_1 src1_sel:DWORD
	v_mul_f16_sdwa v68, v35, v52 dst_sel:DWORD dst_unused:UNUSED_PAD src0_sel:WORD_1 src1_sel:DWORD
	;; [unrolled: 1-line block ×3, first 2 shown]
	v_lshrrev_b32_e32 v63, 16, v39
	v_mul_f16_sdwa v66, v35, v51 dst_sel:DWORD dst_unused:UNUSED_PAD src0_sel:WORD_1 src1_sel:DWORD
	v_mul_f16_sdwa v67, v35, v26 dst_sel:DWORD dst_unused:UNUSED_PAD src0_sel:WORD_1 src1_sel:DWORD
	v_fma_f16 v25, v60, v25, -v61
	v_mul_f16_sdwa v61, v35, v23 dst_sel:DWORD dst_unused:UNUSED_PAD src0_sel:WORD_1 src1_sel:DWORD
	v_fma_f16 v23, v60, v23, -v68
	v_mul_f16_sdwa v68, v47, v36 dst_sel:DWORD dst_unused:UNUSED_PAD src0_sel:DWORD src1_sel:WORD_1
	v_mul_f16_sdwa v64, v36, v50 dst_sel:DWORD dst_unused:UNUSED_PAD src0_sel:WORD_1 src1_sel:DWORD
	v_fma_f16 v26, v60, v26, -v66
	v_mul_f16_sdwa v66, v36, v54 dst_sel:DWORD dst_unused:UNUSED_PAD src0_sel:WORD_1 src1_sel:DWORD
	v_fma_f16 v49, v60, v49, v62
	v_mul_f16_sdwa v62, v22, v36 dst_sel:DWORD dst_unused:UNUSED_PAD src0_sel:DWORD src1_sel:WORD_1
	v_fma_f16 v51, v60, v51, v67
	v_lshrrev_b32_e32 v67, 16, v41
	v_fma_f16 v22, v22, v63, -v68
	v_mul_f16_sdwa v68, v34, v20 dst_sel:DWORD dst_unused:UNUSED_PAD src0_sel:WORD_1 src1_sel:DWORD
	v_mul_f16_sdwa v65, v36, v24 dst_sel:DWORD dst_unused:UNUSED_PAD src0_sel:WORD_1 src1_sel:DWORD
	v_fma_f16 v24, v63, v24, -v64
	v_mul_f16_sdwa v64, v36, v21 dst_sel:DWORD dst_unused:UNUSED_PAD src0_sel:WORD_1 src1_sel:DWORD
	v_fma_f16 v52, v60, v52, v61
	v_mul_f16_sdwa v60, v34, v53 dst_sel:DWORD dst_unused:UNUSED_PAD src0_sel:WORD_1 src1_sel:DWORD
	v_mul_f16_sdwa v61, v34, v19 dst_sel:DWORD dst_unused:UNUSED_PAD src0_sel:WORD_1 src1_sel:DWORD
	v_fma_f16 v21, v63, v21, -v66
	v_mul_f16_sdwa v66, v34, v55 dst_sel:DWORD dst_unused:UNUSED_PAD src0_sel:WORD_1 src1_sel:DWORD
	v_fma_f16 v55, v67, v55, v68
	v_mul_f16_sdwa v68, v37, v58 dst_sel:DWORD dst_unused:UNUSED_PAD src0_sel:WORD_1 src1_sel:DWORD
	v_fma_f16 v50, v63, v50, v65
	v_fma_f16 v54, v63, v54, v64
	;; [unrolled: 1-line block ×3, first 2 shown]
	v_mul_f16_sdwa v62, v37, v56 dst_sel:DWORD dst_unused:UNUSED_PAD src0_sel:WORD_1 src1_sel:DWORD
	v_mul_f16_sdwa v63, v37, v57 dst_sel:DWORD dst_unused:UNUSED_PAD src0_sel:WORD_1 src1_sel:DWORD
	v_fma_f16 v19, v67, v19, -v60
	v_fma_f16 v20, v67, v20, -v66
	v_mul_f16_sdwa v60, v37, v15 dst_sel:DWORD dst_unused:UNUSED_PAD src0_sel:WORD_1 src1_sel:DWORD
	v_mul_f16_sdwa v66, v37, v16 dst_sel:DWORD dst_unused:UNUSED_PAD src0_sel:WORD_1 src1_sel:DWORD
	v_fma_f16 v53, v67, v53, v61
	v_mul_f16_sdwa v61, v37, v18 dst_sel:DWORD dst_unused:UNUSED_PAD src0_sel:WORD_1 src1_sel:DWORD
	v_fma_f16 v18, v46, v18, -v68
	v_fma_f16 v15, v46, v15, -v62
	;; [unrolled: 1-line block ×3, first 2 shown]
	v_fma_f16 v56, v46, v56, v60
	v_fma_f16 v57, v46, v57, v66
	;; [unrolled: 1-line block ×3, first 2 shown]
	v_add_f16_e32 v46, v25, v24
	v_add_f16_e32 v60, v18, v19
	v_sub_f16_e32 v62, v18, v25
	v_sub_f16_e32 v63, v19, v24
	v_mul_f16_sdwa v64, v44, v34 dst_sel:DWORD dst_unused:UNUSED_PAD src0_sel:DWORD src1_sel:WORD_1
	v_add_f16_e32 v61, v17, v18
	v_fma_f16 v46, v46, -0.5, v17
	v_fma_f16 v17, v60, -0.5, v17
	v_add_f16_e32 v60, v62, v63
	v_sub_f16_e32 v62, v58, v53
	v_mul_f16_sdwa v65, v48, v34 dst_sel:DWORD dst_unused:UNUSED_PAD src0_sel:DWORD src1_sel:WORD_1
	v_fma_f16 v48, v48, v67, v64
	v_fma_f16 v63, v62, s7, v46
	v_sub_f16_e32 v64, v49, v50
	v_fma_f16 v46, v62, s14, v46
	v_fma_f16 v63, v64, s6, v63
	v_fma_f16 v46, v64, s9, v46
	v_fma_f16 v44, v44, v67, -v65
	v_fma_f16 v63, v60, s8, v63
	v_fma_f16 v46, v60, s8, v46
	v_sub_f16_e32 v60, v25, v18
	v_sub_f16_e32 v65, v24, v19
	v_add_f16_e32 v60, v60, v65
	v_fma_f16 v65, v64, s14, v17
	v_fma_f16 v17, v64, s7, v17
	;; [unrolled: 1-line block ×6, first 2 shown]
	v_add_f16_e32 v60, v61, v25
	v_add_f16_e32 v60, v60, v24
	;; [unrolled: 1-line block ×3, first 2 shown]
	v_sub_f16_e32 v18, v18, v19
	v_sub_f16_e32 v19, v25, v24
	;; [unrolled: 1-line block ×4, first 2 shown]
	v_add_f16_e32 v24, v24, v25
	v_add_f16_e32 v25, v49, v50
	v_fma_f16 v25, v25, -0.5, v59
	v_fma_f16 v61, v18, s14, v25
	v_fma_f16 v25, v18, s7, v25
	;; [unrolled: 1-line block ×6, first 2 shown]
	v_add_f16_e32 v25, v58, v53
	v_fma_f16 v25, v25, -0.5, v59
	v_add_f16_e32 v59, v59, v58
	v_add_f16_e32 v59, v59, v49
	v_sub_f16_e32 v49, v49, v58
	v_add_f16_e32 v58, v59, v50
	v_sub_f16_e32 v50, v50, v53
	v_add_f16_e32 v49, v49, v50
	v_fma_f16 v50, v19, s7, v25
	v_fma_f16 v19, v19, s14, v25
	;; [unrolled: 1-line block ×6, first 2 shown]
	v_sub_f16_e32 v25, v15, v26
	v_sub_f16_e32 v49, v20, v21
	v_add_f16_e32 v25, v25, v49
	v_add_f16_e32 v49, v26, v21
	v_fma_f16 v49, v49, -0.5, v43
	v_sub_f16_e32 v50, v56, v55
	v_add_f16_e32 v58, v58, v53
	v_fma_f16 v53, v50, s7, v49
	v_sub_f16_e32 v59, v51, v54
	v_fma_f16 v49, v50, s14, v49
	v_fma_f16 v53, v59, s6, v53
	;; [unrolled: 1-line block ×5, first 2 shown]
	v_sub_f16_e32 v49, v26, v15
	v_sub_f16_e32 v64, v21, v20
	v_add_f16_e32 v49, v49, v64
	v_add_f16_e32 v64, v15, v20
	v_fma_f16 v64, v64, -0.5, v43
	v_fma_f16 v65, v59, s14, v64
	v_fma_f16 v59, v59, s7, v64
	;; [unrolled: 1-line block ×6, first 2 shown]
	v_add_f16_e32 v50, v43, v15
	v_add_f16_e32 v50, v50, v26
	;; [unrolled: 1-line block ×4, first 2 shown]
	v_sub_f16_e32 v15, v15, v20
	v_sub_f16_e32 v20, v26, v21
	;; [unrolled: 1-line block ×4, first 2 shown]
	v_add_f16_e32 v21, v21, v26
	v_lshrrev_b32_e32 v26, 16, v43
	v_add_f16_e32 v43, v51, v54
	v_fma_f16 v43, v43, -0.5, v26
	v_fma_f16 v64, v15, s14, v43
	v_fma_f16 v43, v15, s7, v43
	;; [unrolled: 1-line block ×6, first 2 shown]
	v_add_f16_e32 v43, v56, v55
	v_fma_f16 v43, v43, -0.5, v26
	v_add_f16_e32 v26, v26, v56
	v_add_f16_e32 v26, v26, v51
	v_sub_f16_e32 v51, v51, v56
	v_add_f16_e32 v26, v26, v54
	v_sub_f16_e32 v54, v54, v55
	v_add_f16_e32 v51, v51, v54
	v_fma_f16 v54, v20, s7, v43
	v_fma_f16 v20, v20, s14, v43
	;; [unrolled: 1-line block ×6, first 2 shown]
	v_sub_f16_e32 v43, v16, v23
	v_sub_f16_e32 v51, v44, v22
	v_add_f16_e32 v43, v43, v51
	v_add_f16_e32 v51, v23, v22
	v_fma_f16 v51, v51, -0.5, v40
	v_sub_f16_e32 v54, v57, v48
	v_add_f16_e32 v26, v26, v55
	v_fma_f16 v55, v54, s7, v51
	v_sub_f16_e32 v56, v52, v47
	v_fma_f16 v51, v54, s14, v51
	v_fma_f16 v55, v56, s6, v55
	;; [unrolled: 1-line block ×5, first 2 shown]
	v_sub_f16_e32 v51, v23, v16
	v_sub_f16_e32 v65, v22, v44
	v_add_f16_e32 v51, v51, v65
	v_add_f16_e32 v65, v16, v44
	v_fma_f16 v65, v65, -0.5, v40
	v_fma_f16 v66, v56, s14, v65
	v_fma_f16 v56, v56, s7, v65
	;; [unrolled: 1-line block ×6, first 2 shown]
	v_add_f16_e32 v54, v40, v16
	v_add_f16_e32 v54, v54, v23
	;; [unrolled: 1-line block ×4, first 2 shown]
	v_sub_f16_e32 v16, v16, v44
	v_sub_f16_e32 v22, v23, v22
	;; [unrolled: 1-line block ×4, first 2 shown]
	v_add_f16_e32 v23, v23, v44
	v_lshrrev_b32_e32 v40, 16, v40
	v_add_f16_e32 v44, v52, v47
	v_fma_f16 v44, v44, -0.5, v40
	v_fma_f16 v65, v16, s14, v44
	v_fma_f16 v44, v16, s7, v44
	;; [unrolled: 1-line block ×6, first 2 shown]
	v_add_f16_e32 v44, v57, v48
	v_fma_f16 v44, v44, -0.5, v40
	v_add_f16_e32 v40, v40, v57
	v_add_f16_e32 v40, v40, v52
	;; [unrolled: 1-line block ×4, first 2 shown]
	v_sub_f16_e32 v47, v47, v48
	v_fma_f16 v48, v22, s7, v44
	v_fma_f16 v22, v22, s14, v44
	v_fma_f16 v44, v16, s9, v48
	v_lshrrev_b32_e32 v48, 4, v3
	v_pack_b32_f16 v17, v17, v18
	v_lshrrev_b32_e32 v18, 4, v7
	v_mul_u32_u24_e32 v48, 0x50, v48
	v_mul_lo_u32 v18, v18, s4
	v_or_b32_e32 v48, v48, v45
	v_lshl_add_u32 v48, v48, 2, 0
	v_pack_b32_f16 v19, v62, v19
	v_sub_f16_e32 v52, v52, v57
	ds_write2_b32 v48, v19, v17 offset0:32 offset1:48
	v_pack_b32_f16 v17, v46, v24
	v_add_f16_e32 v47, v52, v47
	v_fma_f16 v16, v16, s6, v22
	ds_write_b32 v48, v17 offset:256
	v_or_b32_e32 v17, v18, v45
	v_fma_f16 v22, v47, s8, v44
	v_fma_f16 v16, v47, s8, v16
	v_pack_b32_f16 v44, v60, v58
	v_pack_b32_f16 v47, v63, v61
	v_lshl_add_u32 v17, v17, 2, 0
	v_pack_b32_f16 v18, v50, v26
	v_pack_b32_f16 v19, v53, v64
	ds_write2_b32 v48, v44, v47 offset1:16
	ds_write2_b32 v17, v18, v19 offset1:16
	v_lshrrev_b32_e32 v19, 4, v10
	v_mul_lo_u32 v19, v19, s4
	v_pack_b32_f16 v18, v59, v20
	v_pack_b32_f16 v15, v49, v15
	ds_write2_b32 v17, v18, v15 offset0:32 offset1:48
	v_pack_b32_f16 v15, v25, v21
	ds_write_b32 v17, v15 offset:256
	v_or_b32_e32 v15, v19, v45
	v_lshl_add_u32 v15, v15, 2, 0
	v_pack_b32_f16 v17, v54, v40
	v_pack_b32_f16 v18, v55, v65
	ds_write2_b32 v15, v17, v18 offset1:16
	v_pack_b32_f16 v17, v56, v22
	v_pack_b32_f16 v16, v51, v16
	ds_write2_b32 v15, v17, v16 offset0:32 offset1:48
	v_pack_b32_f16 v16, v43, v23
	ds_write_b32 v15, v16 offset:256
	s_and_saveexec_b64 s[4:5], vcc
	s_cbranch_execz .LBB0_17
; %bb.16:
	v_mov_b32_e32 v15, s13
	v_add_co_u32_e32 v16, vcc, s12, v42
	v_addc_co_u32_e32 v17, vcc, 0, v15, vcc
	v_add_co_u32_e32 v15, vcc, 12, v16
	v_addc_co_u32_e32 v16, vcc, 0, v17, vcc
	global_load_ushort v15, v[15:16], off offset:2
	v_mul_f16_e32 v16, v11, v41
	v_mul_f16_e32 v17, v14, v39
	;; [unrolled: 1-line block ×4, first 2 shown]
	v_fma_f16 v16, v33, v36, v16
	v_fma_f16 v17, v32, v35, v17
	;; [unrolled: 1-line block ×3, first 2 shown]
	v_mul_f16_e32 v20, v32, v39
	v_mul_f16_e32 v21, v33, v41
	v_fma_f16 v13, v13, v37, -v19
	v_add_f16_e32 v19, v8, v18
	v_add_f16_e32 v25, v17, v16
	v_fma_f16 v14, v14, v35, -v20
	v_fma_f16 v11, v11, v36, -v21
	v_add_f16_e32 v20, v4, v13
	v_sub_f16_e32 v21, v17, v18
	v_sub_f16_e32 v24, v18, v17
	;; [unrolled: 1-line block ×3, first 2 shown]
	v_add_f16_e32 v17, v19, v17
	v_fma_f16 v19, v25, -0.5, v8
	v_sub_f16_e32 v23, v14, v11
	v_sub_f16_e32 v26, v14, v13
	;; [unrolled: 1-line block ×3, first 2 shown]
	v_add_f16_e32 v33, v14, v11
	v_add_f16_e32 v14, v20, v14
	;; [unrolled: 1-line block ×3, first 2 shown]
	v_fma_f16 v20, v33, -0.5, v4
	v_add_f16_e32 v14, v14, v11
	v_add_u32_e32 v22, 0x1000, v0
	s_waitcnt vmcnt(0)
	v_mul_f16_e32 v25, v12, v15
	v_mul_f16_e32 v15, v30, v15
	v_fma_f16 v25, v30, v34, v25
	v_fma_f16 v12, v12, v34, -v15
	v_add_f16_e32 v15, v17, v25
	v_sub_f16_e32 v17, v16, v25
	v_sub_f16_e32 v30, v13, v12
	v_add_f16_e32 v33, v18, v25
	v_add_f16_e32 v13, v13, v12
	;; [unrolled: 1-line block ×3, first 2 shown]
	v_sub_f16_e32 v16, v25, v16
	v_sub_f16_e32 v34, v11, v12
	;; [unrolled: 1-line block ×4, first 2 shown]
	v_add_f16_e32 v12, v21, v17
	v_fma_f16 v8, v33, -0.5, v8
	v_fma_f16 v17, v30, s7, v19
	v_fma_f16 v19, v30, s14, v19
	v_fma_f16 v4, v13, -0.5, v4
	v_add_f16_e32 v16, v24, v16
	v_fma_f16 v13, v18, s14, v20
	v_fma_f16 v20, v18, s7, v20
	v_pack_b32_f16 v14, v14, v15
	v_fma_f16 v15, v23, s14, v8
	v_fma_f16 v8, v23, s7, v8
	;; [unrolled: 1-line block ×6, first 2 shown]
	v_add_f16_e32 v21, v26, v34
	v_add_f16_e32 v11, v32, v11
	v_fma_f16 v13, v31, s9, v13
	v_fma_f16 v20, v31, s6, v20
	;; [unrolled: 1-line block ×14, first 2 shown]
	v_pack_b32_f16 v11, v11, v16
	v_pack_b32_f16 v4, v4, v8
	;; [unrolled: 1-line block ×4, first 2 shown]
	ds_write2_b32 v22, v14, v11 offset0:176 offset1:192
	ds_write2_b32 v22, v4, v8 offset0:208 offset1:224
	ds_write_b32 v0, v13 offset:5056
.LBB0_17:
	s_or_b64 exec, exec, s[4:5]
	v_add_u32_e32 v11, 0xa00, v0
	s_waitcnt lgkmcnt(0)
	s_barrier
	ds_read2st64_b32 v[15:16], v0 offset1:5
	ds_read_b32 v4, v29
	ds_read_b32 v8, v28
	;; [unrolled: 1-line block ×3, first 2 shown]
	ds_read2_b32 v[21:22], v11 offset0:80 offset1:160
	v_mul_u32_u24_e32 v11, 15, v3
	v_lshlrev_b32_e32 v47, 2, v11
	global_load_dwordx4 v[11:14], v47, s[12:13] offset:256
	s_waitcnt lgkmcnt(3)
	v_lshrrev_b32_e32 v48, 16, v4
	v_add_u32_e32 v31, 0x400, v0
	ds_read2_b32 v[17:18], v31 offset0:144 offset1:224
	v_add_u32_e32 v34, 0x800, v0
	ds_read2_b32 v[19:20], v34 offset0:48 offset1:128
	;; [unrolled: 2-line block ×3, first 2 shown]
	s_waitcnt lgkmcnt(2)
	v_lshrrev_b32_e32 v32, 16, v17
	v_lshrrev_b32_e32 v33, 16, v18
	s_waitcnt lgkmcnt(1)
	v_lshrrev_b32_e32 v35, 16, v19
	v_lshrrev_b32_e32 v36, 16, v20
	;; [unrolled: 1-line block ×4, first 2 shown]
	s_waitcnt lgkmcnt(0)
	v_lshrrev_b32_e32 v40, 16, v23
	v_lshrrev_b32_e32 v41, 16, v24
	v_add_u32_e32 v42, 0x1000, v0
	ds_read2_b32 v[25:26], v42 offset0:16 offset1:96
	ds_read_b32 v45, v0 offset:4800
	s_mov_b32 s4, 0xb9a8
	s_movk_i32 s5, 0x39a8
	s_mov_b32 s6, 0xbb64
	s_waitcnt lgkmcnt(1)
	v_lshrrev_b32_e32 v43, 16, v25
	v_lshrrev_b32_e32 v44, 16, v26
	s_waitcnt lgkmcnt(0)
	v_lshrrev_b32_e32 v46, 16, v45
	s_mov_b32 s7, 0xb61f
	s_movk_i32 s8, 0x361f
	s_movk_i32 s9, 0x3b64
	v_cmp_ne_u32_e32 vcc, 0, v3
	s_waitcnt vmcnt(0)
	v_mul_f16_sdwa v49, v11, v48 dst_sel:DWORD dst_unused:UNUSED_PAD src0_sel:WORD_1 src1_sel:DWORD
	v_fma_f16 v49, v11, v4, -v49
	v_mul_f16_sdwa v4, v11, v4 dst_sel:DWORD dst_unused:UNUSED_PAD src0_sel:WORD_1 src1_sel:DWORD
	v_fma_f16 v4, v11, v48, v4
	v_lshrrev_b32_e32 v11, 16, v8
	v_mul_f16_sdwa v48, v12, v11 dst_sel:DWORD dst_unused:UNUSED_PAD src0_sel:WORD_1 src1_sel:DWORD
	v_fma_f16 v48, v12, v8, -v48
	v_mul_f16_sdwa v8, v12, v8 dst_sel:DWORD dst_unused:UNUSED_PAD src0_sel:WORD_1 src1_sel:DWORD
	v_fma_f16 v8, v12, v11, v8
	v_lshrrev_b32_e32 v11, 16, v30
	;; [unrolled: 5-line block ×3, first 2 shown]
	v_mul_f16_sdwa v12, v14, v11 dst_sel:DWORD dst_unused:UNUSED_PAD src0_sel:WORD_1 src1_sel:DWORD
	v_fma_f16 v51, v14, v16, -v12
	v_mul_f16_sdwa v12, v14, v16 dst_sel:DWORD dst_unused:UNUSED_PAD src0_sel:WORD_1 src1_sel:DWORD
	v_fma_f16 v16, v14, v11, v12
	global_load_dwordx4 v[11:14], v47, s[12:13] offset:272
	s_waitcnt vmcnt(0)
	v_mul_f16_sdwa v52, v32, v11 dst_sel:DWORD dst_unused:UNUSED_PAD src0_sel:DWORD src1_sel:WORD_1
	v_fma_f16 v52, v17, v11, -v52
	v_mul_f16_sdwa v17, v17, v11 dst_sel:DWORD dst_unused:UNUSED_PAD src0_sel:DWORD src1_sel:WORD_1
	v_fma_f16 v17, v32, v11, v17
	v_mul_f16_sdwa v11, v33, v12 dst_sel:DWORD dst_unused:UNUSED_PAD src0_sel:DWORD src1_sel:WORD_1
	v_fma_f16 v32, v18, v12, -v11
	v_mul_f16_sdwa v11, v18, v12 dst_sel:DWORD dst_unused:UNUSED_PAD src0_sel:DWORD src1_sel:WORD_1
	v_fma_f16 v18, v33, v12, v11
	;; [unrolled: 4-line block ×4, first 2 shown]
	global_load_dwordx4 v[11:14], v47, s[12:13] offset:288
	v_sub_f16_e32 v35, v15, v35
	s_waitcnt vmcnt(0)
	v_mul_f16_sdwa v36, v37, v11 dst_sel:DWORD dst_unused:UNUSED_PAD src0_sel:DWORD src1_sel:WORD_1
	v_fma_f16 v36, v21, v11, -v36
	v_mul_f16_sdwa v21, v21, v11 dst_sel:DWORD dst_unused:UNUSED_PAD src0_sel:DWORD src1_sel:WORD_1
	v_fma_f16 v21, v37, v11, v21
	v_mul_f16_sdwa v11, v38, v12 dst_sel:DWORD dst_unused:UNUSED_PAD src0_sel:DWORD src1_sel:WORD_1
	v_fma_f16 v37, v22, v12, -v11
	v_mul_f16_sdwa v11, v22, v12 dst_sel:DWORD dst_unused:UNUSED_PAD src0_sel:DWORD src1_sel:WORD_1
	v_fma_f16 v22, v38, v12, v11
	;; [unrolled: 4-line block ×4, first 2 shown]
	global_load_dwordx3 v[11:13], v47, s[12:13] offset:304
	v_sub_f16_e32 v40, v51, v40
	v_sub_f16_e32 v14, v16, v14
	;; [unrolled: 1-line block ×4, first 2 shown]
	v_fma_f16 v16, v16, 2.0, -v14
	v_sub_f16_e32 v14, v35, v14
	v_fma_f16 v8, v8, 2.0, -v22
	v_sub_f16_e32 v36, v49, v36
	v_sub_f16_e32 v21, v4, v21
	;; [unrolled: 1-line block ×4, first 2 shown]
	v_fma_f16 v4, v4, 2.0, -v21
	v_fma_f16 v47, v50, 2.0, -v38
	;; [unrolled: 1-line block ×3, first 2 shown]
	s_waitcnt vmcnt(0)
	s_barrier
	v_mul_f16_sdwa v24, v43, v11 dst_sel:DWORD dst_unused:UNUSED_PAD src0_sel:DWORD src1_sel:WORD_1
	v_fma_f16 v24, v25, v11, -v24
	v_mul_f16_sdwa v25, v25, v11 dst_sel:DWORD dst_unused:UNUSED_PAD src0_sel:DWORD src1_sel:WORD_1
	v_fma_f16 v11, v43, v11, v25
	v_mul_f16_sdwa v25, v44, v12 dst_sel:DWORD dst_unused:UNUSED_PAD src0_sel:DWORD src1_sel:WORD_1
	v_fma_f16 v25, v26, v12, -v25
	v_mul_f16_sdwa v26, v26, v12 dst_sel:DWORD dst_unused:UNUSED_PAD src0_sel:DWORD src1_sel:WORD_1
	v_fma_f16 v12, v44, v12, v26
	v_mul_f16_sdwa v26, v46, v13 dst_sel:DWORD dst_unused:UNUSED_PAD src0_sel:DWORD src1_sel:WORD_1
	v_mul_f16_sdwa v41, v45, v13 dst_sel:DWORD dst_unused:UNUSED_PAD src0_sel:DWORD src1_sel:WORD_1
	v_fma_f16 v26, v45, v13, -v26
	v_fma_f16 v13, v46, v13, v41
	v_lshrrev_b32_e32 v41, 16, v15
	v_sub_f16_e32 v20, v41, v20
	v_sub_f16_e32 v25, v32, v25
	;; [unrolled: 1-line block ×3, first 2 shown]
	v_fma_f16 v43, v51, 2.0, -v40
	v_fma_f16 v32, v32, 2.0, -v25
	;; [unrolled: 1-line block ×3, first 2 shown]
	v_add_f16_e32 v40, v20, v40
	v_sub_f16_e32 v12, v37, v12
	v_add_f16_e32 v25, v22, v25
	v_fma_f16 v15, v15, 2.0, -v35
	v_fma_f16 v41, v41, 2.0, -v20
	;; [unrolled: 1-line block ×3, first 2 shown]
	v_sub_f16_e32 v24, v52, v24
	v_sub_f16_e32 v11, v17, v11
	;; [unrolled: 1-line block ×4, first 2 shown]
	v_fma_f16 v35, v35, 2.0, -v14
	v_fma_f16 v20, v20, 2.0, -v40
	;; [unrolled: 1-line block ×9, first 2 shown]
	v_sub_f16_e32 v11, v36, v11
	v_add_f16_e32 v24, v21, v24
	v_sub_f16_e32 v13, v38, v13
	v_add_f16_e32 v26, v23, v26
	v_fma_f16 v48, v37, s4, v35
	v_fma_f16 v49, v22, s4, v20
	v_fma_f16 v36, v36, 2.0, -v11
	v_fma_f16 v21, v21, 2.0, -v24
	;; [unrolled: 1-line block ×4, first 2 shown]
	v_fma_f16 v22, v22, s4, v48
	v_fma_f16 v37, v37, s5, v49
	;; [unrolled: 1-line block ×8, first 2 shown]
	v_sub_f16_e32 v43, v15, v43
	v_sub_f16_e32 v16, v41, v16
	v_sub_f16_e32 v32, v44, v32
	v_sub_f16_e32 v18, v8, v18
	v_sub_f16_e32 v46, v45, v46
	v_sub_f16_e32 v17, v4, v17
	v_sub_f16_e32 v33, v47, v33
	v_sub_f16_e32 v19, v30, v19
	v_fma_f16 v23, v23, s4, v48
	v_fma_f16 v38, v38, s5, v49
	v_fma_f16 v44, v44, 2.0, -v32
	v_fma_f16 v8, v8, 2.0, -v18
	;; [unrolled: 1-line block ×6, first 2 shown]
	v_sub_f16_e32 v18, v43, v18
	v_add_f16_e32 v32, v16, v32
	v_fma_f16 v36, v36, 2.0, -v23
	v_fma_f16 v21, v21, 2.0, -v38
	v_sub_f16_e32 v19, v46, v19
	v_add_f16_e32 v33, v17, v33
	v_fma_f16 v48, v13, s5, v11
	v_fma_f16 v49, v26, s5, v24
	v_fma_f16 v15, v15, 2.0, -v43
	v_fma_f16 v41, v41, 2.0, -v16
	;; [unrolled: 1-line block ×8, first 2 shown]
	v_fma_f16 v26, v26, s4, v48
	v_fma_f16 v13, v13, s5, v49
	;; [unrolled: 1-line block ×4, first 2 shown]
	v_sub_f16_e32 v44, v15, v44
	v_sub_f16_e32 v8, v41, v8
	v_fma_f16 v14, v14, 2.0, -v25
	v_fma_f16 v40, v40, 2.0, -v12
	v_sub_f16_e32 v47, v45, v47
	v_sub_f16_e32 v30, v4, v30
	v_fma_f16 v11, v11, 2.0, -v26
	v_fma_f16 v24, v24, 2.0, -v13
	v_fma_f16 v21, v21, s7, v48
	v_fma_f16 v36, v36, s8, v49
	;; [unrolled: 1-line block ×4, first 2 shown]
	v_fma_f16 v15, v15, 2.0, -v44
	v_fma_f16 v41, v41, 2.0, -v8
	;; [unrolled: 1-line block ×4, first 2 shown]
	v_fma_f16 v17, v17, s4, v48
	v_fma_f16 v46, v46, s5, v49
	;; [unrolled: 1-line block ×4, first 2 shown]
	v_sub_f16_e32 v45, v15, v45
	v_sub_f16_e32 v4, v41, v4
	v_fma_f16 v24, v24, s6, v48
	v_fma_f16 v11, v11, s9, v49
	;; [unrolled: 1-line block ×4, first 2 shown]
	v_fma_f16 v15, v15, 2.0, -v45
	v_fma_f16 v41, v41, 2.0, -v4
	;; [unrolled: 1-line block ×4, first 2 shown]
	v_fma_f16 v38, v38, s6, v48
	v_fma_f16 v23, v23, s9, v49
	;; [unrolled: 1-line block ×4, first 2 shown]
	v_fma_f16 v43, v43, 2.0, -v17
	v_fma_f16 v16, v16, 2.0, -v46
	;; [unrolled: 1-line block ×4, first 2 shown]
	v_sub_f16_e32 v30, v44, v30
	v_add_f16_e32 v47, v8, v47
	v_fma_f16 v33, v33, s4, v48
	v_fma_f16 v19, v19, s5, v49
	;; [unrolled: 1-line block ×4, first 2 shown]
	v_pack_b32_f16 v15, v15, v41
	v_pack_b32_f16 v20, v35, v20
	v_fma_f16 v44, v44, 2.0, -v30
	v_fma_f16 v8, v8, 2.0, -v47
	v_fma_f16 v22, v22, 2.0, -v38
	v_fma_f16 v37, v37, 2.0, -v23
	v_fma_f16 v13, v13, s7, v48
	v_fma_f16 v26, v26, s8, v49
	ds_write2_b32 v0, v15, v20 offset1:80
	v_pack_b32_f16 v15, v43, v16
	v_pack_b32_f16 v14, v14, v40
	v_fma_f16 v18, v18, 2.0, -v33
	v_fma_f16 v32, v32, 2.0, -v19
	v_fma_f16 v25, v25, 2.0, -v13
	v_fma_f16 v12, v12, 2.0, -v26
	ds_write2_b32 v0, v15, v14 offset0:160 offset1:240
	v_pack_b32_f16 v8, v44, v8
	v_pack_b32_f16 v14, v22, v37
	ds_write2_b32 v31, v8, v14 offset0:64 offset1:144
	v_pack_b32_f16 v8, v18, v32
	v_pack_b32_f16 v12, v25, v12
	v_add_u32_e32 v14, 0x600, v0
	ds_write2_b32 v14, v8, v12 offset0:96 offset1:176
	v_pack_b32_f16 v4, v45, v4
	v_pack_b32_f16 v8, v21, v36
	ds_write2_b32 v34, v4, v8 offset0:128 offset1:208
	v_pack_b32_f16 v4, v17, v46
	v_pack_b32_f16 v8, v24, v11
	;; [unrolled: 3-line block ×3, first 2 shown]
	v_add_u32_e32 v11, 0xe00, v0
	ds_write2_b32 v11, v4, v8 offset0:64 offset1:144
	v_pack_b32_f16 v4, v33, v19
	v_pack_b32_f16 v8, v13, v26
	ds_write2_b32 v42, v4, v8 offset0:96 offset1:176
	s_waitcnt lgkmcnt(0)
	s_barrier
	ds_read_b32 v8, v0
	s_add_u32 s6, s12, 0x13c0
	v_lshlrev_b32_e32 v4, 2, v3
	s_addc_u32 s7, s13, 0
	v_sub_u32_e32 v14, 0, v4
                                        ; implicit-def: $vgpr17
                                        ; implicit-def: $vgpr15
                                        ; implicit-def: $vgpr16
                                        ; implicit-def: $vgpr12_vgpr13
	s_and_saveexec_b64 s[4:5], vcc
	s_xor_b64 s[4:5], exec, s[4:5]
	s_cbranch_execz .LBB0_19
; %bb.18:
	v_mov_b32_e32 v4, 0
	v_lshlrev_b64 v[11:12], 2, v[3:4]
	v_mov_b32_e32 v13, s7
	v_add_co_u32_e32 v11, vcc, s6, v11
	v_addc_co_u32_e32 v12, vcc, v13, v12, vcc
	global_load_dword v11, v[11:12], off
	ds_read_b32 v12, v14 offset:5120
	s_mov_b32 s8, 0xffff
	s_waitcnt lgkmcnt(0)
	v_pk_add_f16 v13, v8, v12 neg_lo:[0,1] neg_hi:[0,1]
	v_pk_add_f16 v8, v12, v8
	v_bfi_b32 v12, s8, v13, v8
	v_bfi_b32 v8, s8, v8, v13
	v_pk_mul_f16 v12, v12, 0.5 op_sel_hi:[1,0]
	v_pk_mul_f16 v13, v8, 0.5 op_sel_hi:[1,0]
	s_waitcnt vmcnt(0)
	v_pk_mul_f16 v15, v11, v12 op_sel:[1,0]
	v_pk_mul_f16 v11, v11, v12 op_sel_hi:[0,1]
	v_pk_fma_f16 v8, v8, 0.5, v15 op_sel_hi:[1,0,1]
	v_sub_f16_e32 v12, v13, v15
	v_sub_f16_sdwa v13, v15, v13 dst_sel:DWORD dst_unused:UNUSED_PAD src0_sel:WORD_1 src1_sel:WORD_1
	v_pk_add_f16 v17, v8, v11 op_sel:[0,1] op_sel_hi:[1,0]
	v_pk_add_f16 v8, v8, v11 op_sel:[0,1] op_sel_hi:[1,0] neg_lo:[0,1] neg_hi:[0,1]
	v_sub_f16_sdwa v15, v12, v11 dst_sel:DWORD dst_unused:UNUSED_PAD src0_sel:DWORD src1_sel:WORD_1
	v_sub_f16_e32 v16, v13, v11
	v_mov_b32_e32 v13, v4
	v_bfi_b32 v17, s8, v17, v8
	v_mov_b32_e32 v12, v3
                                        ; implicit-def: $vgpr8
.LBB0_19:
	s_andn2_saveexec_b64 s[4:5], s[4:5]
	s_cbranch_execz .LBB0_21
; %bb.20:
	v_mov_b32_e32 v16, 0
	ds_read_u16 v4, v16 offset:2562
	s_waitcnt lgkmcnt(1)
	v_alignbit_b32 v11, s0, v8, 16
	v_sub_f16_sdwa v15, v8, v8 dst_sel:DWORD dst_unused:UNUSED_PAD src0_sel:DWORD src1_sel:WORD_1
	v_mov_b32_e32 v12, 0
	v_pk_add_f16 v8, v11, v8
	v_mov_b32_e32 v13, 0
	s_waitcnt lgkmcnt(0)
	v_xor_b32_e32 v4, 0x8000, v4
	v_pack_b32_f16 v17, v8, 0
	ds_write_b16 v16, v4 offset:2562
.LBB0_21:
	s_or_b64 exec, exec, s[4:5]
	s_waitcnt lgkmcnt(0)
	v_mov_b32_e32 v8, 0
	v_lshlrev_b64 v[18:19], 2, v[7:8]
	v_mov_b32_e32 v4, s7
	v_add_co_u32_e32 v18, vcc, s6, v18
	v_addc_co_u32_e32 v19, vcc, v4, v19, vcc
	global_load_dword v4, v[18:19], off
	v_mov_b32_e32 v11, v8
	v_lshlrev_b64 v[10:11], 2, v[10:11]
	v_mov_b32_e32 v7, s7
	v_add_co_u32_e32 v10, vcc, s6, v10
	v_addc_co_u32_e32 v11, vcc, v7, v11, vcc
	global_load_dword v7, v[10:11], off
	;; [unrolled: 6-line block ×3, first 2 shown]
	v_lshlrev_b64 v[9:10], 2, v[12:13]
	v_mov_b32_e32 v12, s7
	v_add_co_u32_e32 v9, vcc, s6, v9
	ds_write_b16 v14, v16 offset:5122
	ds_write_b32 v0, v17
	ds_write_b16 v14, v15 offset:5120
	v_addc_co_u32_e32 v10, vcc, v12, v10, vcc
	ds_read_b32 v13, v29
	ds_read_b32 v15, v14 offset:4800
	global_load_dword v12, v[9:10], off offset:1280
	global_load_dword v16, v[9:10], off offset:1600
	;; [unrolled: 1-line block ×4, first 2 shown]
	s_mov_b32 s4, 0xffff
	s_waitcnt lgkmcnt(0)
	v_pk_add_f16 v9, v13, v15 neg_lo:[0,1] neg_hi:[0,1]
	v_pk_add_f16 v10, v13, v15
	v_bfi_b32 v13, s4, v9, v10
	v_bfi_b32 v9, s4, v10, v9
	v_pk_mul_f16 v10, v13, 0.5 op_sel_hi:[1,0]
	v_pk_mul_f16 v9, v9, 0.5 op_sel_hi:[1,0]
	s_waitcnt vmcnt(6)
	v_pk_fma_f16 v13, v4, v10, v9 op_sel:[1,0,0]
	v_pk_mul_f16 v15, v4, v10 op_sel_hi:[0,1]
	v_pk_fma_f16 v19, v4, v10, v9 op_sel:[1,0,0] neg_lo:[1,0,0] neg_hi:[1,0,0]
	v_pk_fma_f16 v4, v4, v10, v9 op_sel:[1,0,0] neg_lo:[0,0,1] neg_hi:[0,0,1]
	v_pk_add_f16 v9, v13, v15 op_sel:[0,1] op_sel_hi:[1,0]
	v_pk_add_f16 v10, v13, v15 op_sel:[0,1] op_sel_hi:[1,0] neg_lo:[0,1] neg_hi:[0,1]
	v_pk_add_f16 v13, v19, v15 op_sel:[0,1] op_sel_hi:[1,0] neg_lo:[0,1] neg_hi:[0,1]
	;; [unrolled: 1-line block ×3, first 2 shown]
	v_bfi_b32 v9, s4, v9, v10
	v_bfi_b32 v4, s4, v13, v4
	ds_write_b32 v29, v9
	ds_write_b32 v14, v4 offset:4800
	ds_read_b32 v4, v28
	ds_read_b32 v9, v14 offset:4480
	s_waitcnt lgkmcnt(0)
	v_pk_add_f16 v10, v4, v9 neg_lo:[0,1] neg_hi:[0,1]
	v_pk_add_f16 v4, v4, v9
	v_bfi_b32 v9, s4, v10, v4
	v_bfi_b32 v4, s4, v4, v10
	v_pk_mul_f16 v9, v9, 0.5 op_sel_hi:[1,0]
	v_pk_mul_f16 v4, v4, 0.5 op_sel_hi:[1,0]
	s_waitcnt vmcnt(5)
	v_pk_fma_f16 v10, v7, v9, v4 op_sel:[1,0,0]
	v_pk_mul_f16 v13, v7, v9 op_sel_hi:[0,1]
	v_pk_fma_f16 v15, v7, v9, v4 op_sel:[1,0,0] neg_lo:[1,0,0] neg_hi:[1,0,0]
	v_pk_fma_f16 v4, v7, v9, v4 op_sel:[1,0,0] neg_lo:[0,0,1] neg_hi:[0,0,1]
	v_pk_add_f16 v7, v10, v13 op_sel:[0,1] op_sel_hi:[1,0]
	v_pk_add_f16 v9, v10, v13 op_sel:[0,1] op_sel_hi:[1,0] neg_lo:[0,1] neg_hi:[0,1]
	v_pk_add_f16 v10, v15, v13 op_sel:[0,1] op_sel_hi:[1,0] neg_lo:[0,1] neg_hi:[0,1]
	;; [unrolled: 1-line block ×3, first 2 shown]
	v_bfi_b32 v7, s4, v7, v9
	v_bfi_b32 v4, s4, v10, v4
	ds_write_b32 v28, v7
	ds_write_b32 v14, v4 offset:4480
	ds_read_b32 v4, v27
	ds_read_b32 v7, v14 offset:4160
	s_waitcnt lgkmcnt(0)
	v_pk_add_f16 v9, v4, v7 neg_lo:[0,1] neg_hi:[0,1]
	v_pk_add_f16 v4, v4, v7
	v_bfi_b32 v7, s4, v9, v4
	v_bfi_b32 v4, s4, v4, v9
	v_pk_mul_f16 v7, v7, 0.5 op_sel_hi:[1,0]
	v_pk_mul_f16 v4, v4, 0.5 op_sel_hi:[1,0]
	s_waitcnt vmcnt(4)
	v_pk_fma_f16 v9, v11, v7, v4 op_sel:[1,0,0]
	v_pk_mul_f16 v10, v11, v7 op_sel_hi:[0,1]
	v_pk_fma_f16 v13, v11, v7, v4 op_sel:[1,0,0] neg_lo:[1,0,0] neg_hi:[1,0,0]
	v_pk_fma_f16 v4, v11, v7, v4 op_sel:[1,0,0] neg_lo:[0,0,1] neg_hi:[0,0,1]
	v_pk_add_f16 v7, v9, v10 op_sel:[0,1] op_sel_hi:[1,0]
	v_pk_add_f16 v9, v9, v10 op_sel:[0,1] op_sel_hi:[1,0] neg_lo:[0,1] neg_hi:[0,1]
	v_pk_add_f16 v11, v13, v10 op_sel:[0,1] op_sel_hi:[1,0] neg_lo:[0,1] neg_hi:[0,1]
	v_pk_add_f16 v4, v4, v10 op_sel:[0,1] op_sel_hi:[1,0] neg_lo:[0,1] neg_hi:[0,1]
	v_bfi_b32 v7, s4, v7, v9
	v_bfi_b32 v4, s4, v11, v4
	ds_write_b32 v27, v7
	ds_write_b32 v14, v4 offset:4160
	ds_read_b32 v4, v0 offset:1280
	ds_read_b32 v7, v14 offset:3840
	s_waitcnt lgkmcnt(0)
	v_pk_add_f16 v9, v4, v7 neg_lo:[0,1] neg_hi:[0,1]
	v_pk_add_f16 v4, v4, v7
	v_bfi_b32 v7, s4, v9, v4
	v_bfi_b32 v4, s4, v4, v9
	v_pk_mul_f16 v7, v7, 0.5 op_sel_hi:[1,0]
	v_pk_mul_f16 v9, v4, 0.5 op_sel_hi:[1,0]
	s_waitcnt vmcnt(3)
	v_pk_mul_f16 v10, v12, v7 op_sel:[1,0]
	v_pk_mul_f16 v7, v12, v7 op_sel_hi:[0,1]
	v_pk_fma_f16 v4, v4, 0.5, v10 op_sel_hi:[1,0,1]
	v_sub_f16_e32 v11, v9, v10
	v_sub_f16_sdwa v9, v10, v9 dst_sel:DWORD dst_unused:UNUSED_PAD src0_sel:WORD_1 src1_sel:WORD_1
	v_pk_add_f16 v10, v4, v7 op_sel:[0,1] op_sel_hi:[1,0]
	v_pk_add_f16 v4, v4, v7 op_sel:[0,1] op_sel_hi:[1,0] neg_lo:[0,1] neg_hi:[0,1]
	v_sub_f16_sdwa v11, v11, v7 dst_sel:DWORD dst_unused:UNUSED_PAD src0_sel:DWORD src1_sel:WORD_1
	v_sub_f16_e32 v7, v9, v7
	v_bfi_b32 v4, s4, v10, v4
	ds_write_b16 v14, v7 offset:3842
	ds_write_b32 v0, v4 offset:1280
	ds_write_b16 v14, v11 offset:3840
	ds_read_b32 v4, v0 offset:1600
	ds_read_b32 v7, v14 offset:3520
	s_waitcnt lgkmcnt(0)
	v_pk_add_f16 v9, v4, v7 neg_lo:[0,1] neg_hi:[0,1]
	v_pk_add_f16 v4, v4, v7
	v_bfi_b32 v7, s4, v9, v4
	v_bfi_b32 v4, s4, v4, v9
	v_pk_mul_f16 v7, v7, 0.5 op_sel_hi:[1,0]
	v_pk_mul_f16 v4, v4, 0.5 op_sel_hi:[1,0]
	s_waitcnt vmcnt(2)
	v_pk_fma_f16 v9, v16, v7, v4 op_sel:[1,0,0]
	v_pk_mul_f16 v10, v16, v7 op_sel_hi:[0,1]
	v_pk_fma_f16 v11, v16, v7, v4 op_sel:[1,0,0] neg_lo:[1,0,0] neg_hi:[1,0,0]
	v_pk_fma_f16 v4, v16, v7, v4 op_sel:[1,0,0] neg_lo:[0,0,1] neg_hi:[0,0,1]
	v_pk_add_f16 v7, v9, v10 op_sel:[0,1] op_sel_hi:[1,0]
	v_pk_add_f16 v9, v9, v10 op_sel:[0,1] op_sel_hi:[1,0] neg_lo:[0,1] neg_hi:[0,1]
	v_pk_add_f16 v11, v11, v10 op_sel:[0,1] op_sel_hi:[1,0] neg_lo:[0,1] neg_hi:[0,1]
	;; [unrolled: 1-line block ×3, first 2 shown]
	v_bfi_b32 v7, s4, v7, v9
	v_bfi_b32 v4, s4, v11, v4
	ds_write_b32 v0, v7 offset:1600
	ds_write_b32 v14, v4 offset:3520
	ds_read_b32 v4, v0 offset:1920
	ds_read_b32 v7, v14 offset:3200
	s_waitcnt lgkmcnt(0)
	v_pk_add_f16 v9, v4, v7 neg_lo:[0,1] neg_hi:[0,1]
	v_pk_add_f16 v4, v4, v7
	v_bfi_b32 v7, s4, v9, v4
	v_bfi_b32 v4, s4, v4, v9
	v_pk_mul_f16 v7, v7, 0.5 op_sel_hi:[1,0]
	v_pk_mul_f16 v4, v4, 0.5 op_sel_hi:[1,0]
	s_waitcnt vmcnt(1)
	v_pk_fma_f16 v9, v17, v7, v4 op_sel:[1,0,0]
	v_pk_mul_f16 v10, v17, v7 op_sel_hi:[0,1]
	v_pk_add_f16 v11, v9, v10 op_sel:[0,1] op_sel_hi:[1,0]
	v_pk_add_f16 v9, v9, v10 op_sel:[0,1] op_sel_hi:[1,0] neg_lo:[0,1] neg_hi:[0,1]
	v_bfi_b32 v9, s4, v11, v9
	v_pk_fma_f16 v11, v17, v7, v4 op_sel:[1,0,0] neg_lo:[1,0,0] neg_hi:[1,0,0]
	v_pk_fma_f16 v4, v17, v7, v4 op_sel:[1,0,0] neg_lo:[0,0,1] neg_hi:[0,0,1]
	v_pk_add_f16 v11, v11, v10 op_sel:[0,1] op_sel_hi:[1,0] neg_lo:[0,1] neg_hi:[0,1]
	v_pk_add_f16 v4, v4, v10 op_sel:[0,1] op_sel_hi:[1,0] neg_lo:[0,1] neg_hi:[0,1]
	v_bfi_b32 v4, s4, v11, v4
	ds_write_b32 v0, v9 offset:1920
	ds_write_b32 v14, v4 offset:3200
	ds_read_b32 v4, v0 offset:2240
	ds_read_b32 v7, v14 offset:2880
	s_waitcnt lgkmcnt(0)
	v_pk_add_f16 v9, v4, v7 neg_lo:[0,1] neg_hi:[0,1]
	v_pk_add_f16 v4, v4, v7
	v_bfi_b32 v7, s4, v9, v4
	v_bfi_b32 v4, s4, v4, v9
	v_pk_mul_f16 v7, v7, 0.5 op_sel_hi:[1,0]
	v_pk_mul_f16 v4, v4, 0.5 op_sel_hi:[1,0]
	s_waitcnt vmcnt(0)
	v_pk_fma_f16 v9, v18, v7, v4 op_sel:[1,0,0]
	v_pk_mul_f16 v10, v18, v7 op_sel_hi:[0,1]
	v_pk_add_f16 v11, v9, v10 op_sel:[0,1] op_sel_hi:[1,0]
	v_pk_add_f16 v9, v9, v10 op_sel:[0,1] op_sel_hi:[1,0] neg_lo:[0,1] neg_hi:[0,1]
	v_bfi_b32 v9, s4, v11, v9
	v_pk_fma_f16 v11, v18, v7, v4 op_sel:[1,0,0] neg_lo:[1,0,0] neg_hi:[1,0,0]
	v_pk_fma_f16 v4, v18, v7, v4 op_sel:[1,0,0] neg_lo:[0,0,1] neg_hi:[0,0,1]
	v_pk_add_f16 v11, v11, v10 op_sel:[0,1] op_sel_hi:[1,0] neg_lo:[0,1] neg_hi:[0,1]
	v_pk_add_f16 v4, v4, v10 op_sel:[0,1] op_sel_hi:[1,0] neg_lo:[0,1] neg_hi:[0,1]
	ds_write_b32 v0, v9 offset:2240
	v_bfi_b32 v0, s4, v11, v4
	ds_write_b32 v14, v0 offset:2880
	s_waitcnt lgkmcnt(0)
	s_barrier
	s_and_saveexec_b64 s[4:5], s[0:1]
	s_cbranch_execz .LBB0_24
; %bb.22:
	v_mul_lo_u32 v0, s3, v5
	v_mul_lo_u32 v4, s2, v6
	v_mad_u64_u32 v[5:6], s[0:1], s2, v5, 0
	v_lshl_add_u32 v11, v3, 2, 0
	v_lshlrev_b64 v[1:2], 2, v[1:2]
	v_add3_u32 v6, v6, v4, v0
	v_lshlrev_b64 v[5:6], 2, v[5:6]
	v_mov_b32_e32 v0, s11
	v_add_co_u32_e32 v5, vcc, s10, v5
	v_mov_b32_e32 v4, v8
	ds_read2_b32 v[9:10], v11 offset1:80
	v_addc_co_u32_e32 v0, vcc, v0, v6, vcc
	v_add_co_u32_e32 v1, vcc, v5, v1
	v_lshlrev_b64 v[4:5], 2, v[3:4]
	v_addc_co_u32_e32 v0, vcc, v0, v2, vcc
	v_add_co_u32_e32 v4, vcc, v1, v4
	v_addc_co_u32_e32 v5, vcc, v0, v5, vcc
	v_add_u32_e32 v7, 0x50, v3
	s_waitcnt lgkmcnt(0)
	global_store_dword v[4:5], v9, off
	v_lshlrev_b64 v[4:5], 2, v[7:8]
	v_add_u32_e32 v7, 0xa0, v3
	v_add_co_u32_e32 v4, vcc, v1, v4
	v_addc_co_u32_e32 v5, vcc, v0, v5, vcc
	global_store_dword v[4:5], v10, off
	ds_read2_b32 v[4:5], v11 offset0:160 offset1:240
	v_lshlrev_b64 v[6:7], 2, v[7:8]
	v_add_u32_e32 v2, 0x400, v11
	v_add_co_u32_e32 v6, vcc, v1, v6
	v_addc_co_u32_e32 v7, vcc, v0, v7, vcc
	s_waitcnt lgkmcnt(0)
	global_store_dword v[6:7], v4, off
	v_add_u32_e32 v7, 0xf0, v3
	v_lshlrev_b64 v[6:7], 2, v[7:8]
	s_movk_i32 s0, 0x4f
	v_add_co_u32_e32 v6, vcc, v1, v6
	v_addc_co_u32_e32 v7, vcc, v0, v7, vcc
	global_store_dword v[6:7], v5, off
	v_add_u32_e32 v7, 0x140, v3
	ds_read2_b32 v[4:5], v2 offset0:64 offset1:144
	v_lshlrev_b64 v[6:7], 2, v[7:8]
	v_add_u32_e32 v2, 0x600, v11
	v_add_co_u32_e32 v6, vcc, v1, v6
	v_addc_co_u32_e32 v7, vcc, v0, v7, vcc
	s_waitcnt lgkmcnt(0)
	global_store_dword v[6:7], v4, off
	v_add_u32_e32 v7, 0x190, v3
	v_lshlrev_b64 v[6:7], 2, v[7:8]
	v_add_co_u32_e32 v6, vcc, v1, v6
	v_addc_co_u32_e32 v7, vcc, v0, v7, vcc
	global_store_dword v[6:7], v5, off
	v_add_u32_e32 v7, 0x1e0, v3
	ds_read2_b32 v[4:5], v2 offset0:96 offset1:176
	v_lshlrev_b64 v[6:7], 2, v[7:8]
	v_add_u32_e32 v2, 0x800, v11
	v_add_co_u32_e32 v6, vcc, v1, v6
	v_addc_co_u32_e32 v7, vcc, v0, v7, vcc
	s_waitcnt lgkmcnt(0)
	global_store_dword v[6:7], v4, off
	v_add_u32_e32 v7, 0x230, v3
	v_lshlrev_b64 v[6:7], 2, v[7:8]
	;; [unrolled: 13-line block ×5, first 2 shown]
	v_add_co_u32_e32 v6, vcc, v1, v6
	v_addc_co_u32_e32 v7, vcc, v0, v7, vcc
	global_store_dword v[6:7], v5, off
	v_add_u32_e32 v7, 0x460, v3
	ds_read2_b32 v[4:5], v2 offset0:96 offset1:176
	v_lshlrev_b64 v[6:7], 2, v[7:8]
	v_add_co_u32_e32 v6, vcc, v1, v6
	v_addc_co_u32_e32 v7, vcc, v0, v7, vcc
	s_waitcnt lgkmcnt(0)
	global_store_dword v[6:7], v4, off
	v_add_u32_e32 v7, 0x4b0, v3
	v_lshlrev_b64 v[6:7], 2, v[7:8]
	v_add_co_u32_e32 v6, vcc, v1, v6
	v_addc_co_u32_e32 v7, vcc, v0, v7, vcc
	v_cmp_eq_u32_e32 vcc, s0, v3
	global_store_dword v[6:7], v5, off
	s_and_b64 exec, exec, vcc
	s_cbranch_execz .LBB0_24
; %bb.23:
	v_mov_b32_e32 v2, 0
	ds_read_b32 v3, v2 offset:5120
	v_add_co_u32_e32 v1, vcc, 0x1000, v1
	v_addc_co_u32_e32 v2, vcc, 0, v0, vcc
	s_waitcnt lgkmcnt(0)
	global_store_dword v[1:2], v3, off offset:1024
.LBB0_24:
	s_endpgm
	.section	.rodata,"a",@progbits
	.p2align	6, 0x0
	.amdhsa_kernel fft_rtc_fwd_len1280_factors_16_5_16_wgs_80_tpt_80_halfLds_half_op_CI_CI_unitstride_sbrr_R2C_dirReg
		.amdhsa_group_segment_fixed_size 0
		.amdhsa_private_segment_fixed_size 0
		.amdhsa_kernarg_size 104
		.amdhsa_user_sgpr_count 6
		.amdhsa_user_sgpr_private_segment_buffer 1
		.amdhsa_user_sgpr_dispatch_ptr 0
		.amdhsa_user_sgpr_queue_ptr 0
		.amdhsa_user_sgpr_kernarg_segment_ptr 1
		.amdhsa_user_sgpr_dispatch_id 0
		.amdhsa_user_sgpr_flat_scratch_init 0
		.amdhsa_user_sgpr_private_segment_size 0
		.amdhsa_uses_dynamic_stack 0
		.amdhsa_system_sgpr_private_segment_wavefront_offset 0
		.amdhsa_system_sgpr_workgroup_id_x 1
		.amdhsa_system_sgpr_workgroup_id_y 0
		.amdhsa_system_sgpr_workgroup_id_z 0
		.amdhsa_system_sgpr_workgroup_info 0
		.amdhsa_system_vgpr_workitem_id 0
		.amdhsa_next_free_vgpr 69
		.amdhsa_next_free_sgpr 28
		.amdhsa_reserve_vcc 1
		.amdhsa_reserve_flat_scratch 0
		.amdhsa_float_round_mode_32 0
		.amdhsa_float_round_mode_16_64 0
		.amdhsa_float_denorm_mode_32 3
		.amdhsa_float_denorm_mode_16_64 3
		.amdhsa_dx10_clamp 1
		.amdhsa_ieee_mode 1
		.amdhsa_fp16_overflow 0
		.amdhsa_exception_fp_ieee_invalid_op 0
		.amdhsa_exception_fp_denorm_src 0
		.amdhsa_exception_fp_ieee_div_zero 0
		.amdhsa_exception_fp_ieee_overflow 0
		.amdhsa_exception_fp_ieee_underflow 0
		.amdhsa_exception_fp_ieee_inexact 0
		.amdhsa_exception_int_div_zero 0
	.end_amdhsa_kernel
	.text
.Lfunc_end0:
	.size	fft_rtc_fwd_len1280_factors_16_5_16_wgs_80_tpt_80_halfLds_half_op_CI_CI_unitstride_sbrr_R2C_dirReg, .Lfunc_end0-fft_rtc_fwd_len1280_factors_16_5_16_wgs_80_tpt_80_halfLds_half_op_CI_CI_unitstride_sbrr_R2C_dirReg
                                        ; -- End function
	.section	.AMDGPU.csdata,"",@progbits
; Kernel info:
; codeLenInByte = 10064
; NumSgprs: 32
; NumVgprs: 69
; ScratchSize: 0
; MemoryBound: 0
; FloatMode: 240
; IeeeMode: 1
; LDSByteSize: 0 bytes/workgroup (compile time only)
; SGPRBlocks: 3
; VGPRBlocks: 17
; NumSGPRsForWavesPerEU: 32
; NumVGPRsForWavesPerEU: 69
; Occupancy: 3
; WaveLimiterHint : 1
; COMPUTE_PGM_RSRC2:SCRATCH_EN: 0
; COMPUTE_PGM_RSRC2:USER_SGPR: 6
; COMPUTE_PGM_RSRC2:TRAP_HANDLER: 0
; COMPUTE_PGM_RSRC2:TGID_X_EN: 1
; COMPUTE_PGM_RSRC2:TGID_Y_EN: 0
; COMPUTE_PGM_RSRC2:TGID_Z_EN: 0
; COMPUTE_PGM_RSRC2:TIDIG_COMP_CNT: 0
	.type	__hip_cuid_ecf99601d5098e55,@object ; @__hip_cuid_ecf99601d5098e55
	.section	.bss,"aw",@nobits
	.globl	__hip_cuid_ecf99601d5098e55
__hip_cuid_ecf99601d5098e55:
	.byte	0                               ; 0x0
	.size	__hip_cuid_ecf99601d5098e55, 1

	.ident	"AMD clang version 19.0.0git (https://github.com/RadeonOpenCompute/llvm-project roc-6.4.0 25133 c7fe45cf4b819c5991fe208aaa96edf142730f1d)"
	.section	".note.GNU-stack","",@progbits
	.addrsig
	.addrsig_sym __hip_cuid_ecf99601d5098e55
	.amdgpu_metadata
---
amdhsa.kernels:
  - .args:
      - .actual_access:  read_only
        .address_space:  global
        .offset:         0
        .size:           8
        .value_kind:     global_buffer
      - .offset:         8
        .size:           8
        .value_kind:     by_value
      - .actual_access:  read_only
        .address_space:  global
        .offset:         16
        .size:           8
        .value_kind:     global_buffer
      - .actual_access:  read_only
        .address_space:  global
        .offset:         24
        .size:           8
        .value_kind:     global_buffer
      - .actual_access:  read_only
        .address_space:  global
        .offset:         32
        .size:           8
        .value_kind:     global_buffer
      - .offset:         40
        .size:           8
        .value_kind:     by_value
      - .actual_access:  read_only
        .address_space:  global
        .offset:         48
        .size:           8
        .value_kind:     global_buffer
      - .actual_access:  read_only
        .address_space:  global
        .offset:         56
        .size:           8
        .value_kind:     global_buffer
      - .offset:         64
        .size:           4
        .value_kind:     by_value
      - .actual_access:  read_only
        .address_space:  global
        .offset:         72
        .size:           8
        .value_kind:     global_buffer
      - .actual_access:  read_only
        .address_space:  global
        .offset:         80
        .size:           8
        .value_kind:     global_buffer
      - .actual_access:  read_only
        .address_space:  global
        .offset:         88
        .size:           8
        .value_kind:     global_buffer
      - .actual_access:  write_only
        .address_space:  global
        .offset:         96
        .size:           8
        .value_kind:     global_buffer
    .group_segment_fixed_size: 0
    .kernarg_segment_align: 8
    .kernarg_segment_size: 104
    .language:       OpenCL C
    .language_version:
      - 2
      - 0
    .max_flat_workgroup_size: 80
    .name:           fft_rtc_fwd_len1280_factors_16_5_16_wgs_80_tpt_80_halfLds_half_op_CI_CI_unitstride_sbrr_R2C_dirReg
    .private_segment_fixed_size: 0
    .sgpr_count:     32
    .sgpr_spill_count: 0
    .symbol:         fft_rtc_fwd_len1280_factors_16_5_16_wgs_80_tpt_80_halfLds_half_op_CI_CI_unitstride_sbrr_R2C_dirReg.kd
    .uniform_work_group_size: 1
    .uses_dynamic_stack: false
    .vgpr_count:     69
    .vgpr_spill_count: 0
    .wavefront_size: 64
amdhsa.target:   amdgcn-amd-amdhsa--gfx906
amdhsa.version:
  - 1
  - 2
...

	.end_amdgpu_metadata
